;; amdgpu-corpus repo=ROCm/rocFFT kind=compiled arch=gfx906 opt=O3
	.text
	.amdgcn_target "amdgcn-amd-amdhsa--gfx906"
	.amdhsa_code_object_version 6
	.protected	fft_rtc_fwd_len343_factors_7_7_7_wgs_245_tpt_49_dp_op_CI_CI_sbcc ; -- Begin function fft_rtc_fwd_len343_factors_7_7_7_wgs_245_tpt_49_dp_op_CI_CI_sbcc
	.globl	fft_rtc_fwd_len343_factors_7_7_7_wgs_245_tpt_49_dp_op_CI_CI_sbcc
	.p2align	8
	.type	fft_rtc_fwd_len343_factors_7_7_7_wgs_245_tpt_49_dp_op_CI_CI_sbcc,@function
fft_rtc_fwd_len343_factors_7_7_7_wgs_245_tpt_49_dp_op_CI_CI_sbcc: ; @fft_rtc_fwd_len343_factors_7_7_7_wgs_245_tpt_49_dp_op_CI_CI_sbcc
; %bb.0:
	s_load_dwordx4 s[0:3], s[4:5], 0x18
	s_load_dwordx2 s[26:27], s[4:5], 0x28
	s_mov_b32 s7, 0
	s_mov_b64 s[20:21], 0
	s_waitcnt lgkmcnt(0)
	s_load_dwordx2 s[24:25], s[0:1], 0x8
	s_waitcnt lgkmcnt(0)
	s_add_u32 s8, s24, -1
	s_addc_u32 s9, s25, -1
	s_add_u32 s10, 0, 0x3330c000
	s_addc_u32 s11, 0, 0xb3
	s_mul_hi_u32 s13, s10, -5
	s_add_i32 s11, s11, 0x33333280
	s_sub_i32 s13, s13, s10
	s_mul_i32 s16, s11, -5
	s_mul_i32 s12, s10, -5
	s_add_i32 s13, s13, s16
	s_mul_hi_u32 s14, s11, s12
	s_mul_i32 s15, s11, s12
	s_mul_i32 s17, s10, s13
	s_mul_hi_u32 s12, s10, s12
	s_mul_hi_u32 s16, s10, s13
	s_add_u32 s12, s12, s17
	s_addc_u32 s16, 0, s16
	s_add_u32 s12, s12, s15
	s_mul_hi_u32 s17, s11, s13
	s_addc_u32 s12, s16, s14
	s_addc_u32 s14, s17, 0
	s_mul_i32 s13, s11, s13
	s_add_u32 s12, s12, s13
	v_mov_b32_e32 v1, s12
	s_addc_u32 s13, 0, s14
	v_add_co_u32_e32 v1, vcc, s10, v1
	s_cmp_lg_u64 vcc, 0
	s_addc_u32 s10, s11, s13
	v_readfirstlane_b32 s13, v1
	s_mul_i32 s12, s8, s10
	s_mul_hi_u32 s14, s8, s13
	s_mul_hi_u32 s11, s8, s10
	s_add_u32 s12, s14, s12
	s_addc_u32 s11, 0, s11
	s_mul_hi_u32 s15, s9, s13
	s_mul_i32 s13, s9, s13
	s_add_u32 s12, s12, s13
	s_mul_hi_u32 s14, s9, s10
	s_addc_u32 s11, s11, s15
	s_addc_u32 s12, s14, 0
	s_mul_i32 s10, s9, s10
	s_add_u32 s10, s11, s10
	s_addc_u32 s11, 0, s12
	s_add_u32 s12, s10, 1
	s_addc_u32 s13, s11, 0
	s_add_u32 s14, s10, 2
	s_mul_i32 s16, s11, 5
	s_mul_hi_u32 s17, s10, 5
	s_addc_u32 s15, s11, 0
	s_add_i32 s17, s17, s16
	s_mul_i32 s16, s10, 5
	v_mov_b32_e32 v1, s16
	v_sub_co_u32_e32 v1, vcc, s8, v1
	s_cmp_lg_u64 vcc, 0
	s_subb_u32 s8, s9, s17
	v_subrev_co_u32_e32 v2, vcc, 5, v1
	s_cmp_lg_u64 vcc, 0
	s_subb_u32 s9, s8, 0
	v_readfirstlane_b32 s16, v2
	s_cmp_gt_u32 s16, 4
	s_cselect_b32 s16, -1, 0
	s_cmp_eq_u32 s9, 0
	s_cselect_b32 s9, s16, -1
	s_cmp_lg_u32 s9, 0
	s_cselect_b32 s9, s14, s12
	s_cselect_b32 s12, s15, s13
	v_readfirstlane_b32 s13, v1
	s_cmp_gt_u32 s13, 4
	s_cselect_b32 s13, -1, 0
	s_cmp_eq_u32 s8, 0
	s_cselect_b32 s8, s13, -1
	s_cmp_lg_u32 s8, 0
	s_cselect_b32 s9, s9, s10
	s_cselect_b32 s8, s12, s11
	s_add_u32 s30, s9, 1
	s_addc_u32 s31, s8, 0
	v_mov_b32_e32 v1, s30
	v_mov_b32_e32 v2, s31
	v_cmp_lt_u64_e32 vcc, s[6:7], v[1:2]
	s_cbranch_vccnz .LBB0_2
; %bb.1:
	v_cvt_f32_u32_e32 v1, s30
	s_sub_i32 s8, 0, s30
	s_mov_b32 s21, s7
	v_rcp_iflag_f32_e32 v1, v1
	v_mul_f32_e32 v1, 0x4f7ffffe, v1
	v_cvt_u32_f32_e32 v1, v1
	v_readfirstlane_b32 s9, v1
	s_mul_i32 s8, s8, s9
	s_mul_hi_u32 s8, s9, s8
	s_add_i32 s9, s9, s8
	s_mul_hi_u32 s8, s6, s9
	s_mul_i32 s10, s8, s30
	s_sub_i32 s10, s6, s10
	s_add_i32 s9, s8, 1
	s_sub_i32 s11, s10, s30
	s_cmp_ge_u32 s10, s30
	s_cselect_b32 s8, s9, s8
	s_cselect_b32 s10, s11, s10
	s_add_i32 s9, s8, 1
	s_cmp_ge_u32 s10, s30
	s_cselect_b32 s20, s9, s8
.LBB0_2:
	s_load_dwordx4 s[12:15], s[4:5], 0x60
	s_load_dwordx4 s[16:19], s[2:3], 0x0
	;; [unrolled: 1-line block ×3, first 2 shown]
	s_load_dwordx2 s[22:23], s[4:5], 0x0
	s_load_dwordx2 s[34:35], s[4:5], 0x10
	s_mul_i32 s4, s20, s31
	s_mul_hi_u32 s5, s20, s30
	s_add_i32 s5, s5, s4
	s_mul_i32 s4, s20, s30
	s_sub_u32 s50, s6, s4
	s_subb_u32 s4, 0, s5
	s_mul_i32 s4, s4, 5
	s_mul_hi_u32 s33, s50, 5
	s_add_i32 s33, s33, s4
	s_mul_i32 s50, s50, 5
	s_waitcnt lgkmcnt(0)
	s_mul_i32 s4, s18, s33
	s_mul_hi_u32 s5, s18, s50
	s_add_i32 s4, s5, s4
	s_mul_i32 s5, s19, s50
	s_add_i32 s29, s4, s5
	s_mul_i32 s4, s10, s33
	s_mul_hi_u32 s5, s10, s50
	v_cmp_lt_u64_e64 s[36:37], s[34:35], 3
	s_add_i32 s4, s5, s4
	s_mul_i32 s5, s11, s50
	s_mul_i32 s28, s18, s50
	s_add_i32 s5, s4, s5
	s_mul_i32 s4, s10, s50
	s_and_b64 vcc, exec, s[36:37]
	s_cbranch_vccnz .LBB0_12
; %bb.3:
	s_add_u32 s36, s26, 16
	s_addc_u32 s37, s27, 0
	s_add_u32 s38, s2, 16
	s_addc_u32 s39, s3, 0
	s_add_u32 s40, s0, 16
	v_mov_b32_e32 v1, s34
	s_addc_u32 s41, s1, 0
	s_mov_b64 s[42:43], 2
	s_mov_b32 s44, 0
	v_mov_b32_e32 v2, s35
.LBB0_4:                                ; =>This Inner Loop Header: Depth=1
	s_load_dwordx2 s[46:47], s[40:41], 0x0
	s_waitcnt lgkmcnt(0)
	s_or_b64 s[0:1], s[20:21], s[46:47]
	s_mov_b32 s45, s1
	s_cmp_lg_u64 s[44:45], 0
	s_cbranch_scc0 .LBB0_9
; %bb.5:                                ;   in Loop: Header=BB0_4 Depth=1
	v_cvt_f32_u32_e32 v3, s46
	v_cvt_f32_u32_e32 v4, s47
	s_sub_u32 s0, 0, s46
	s_subb_u32 s1, 0, s47
	v_mac_f32_e32 v3, 0x4f800000, v4
	v_rcp_f32_e32 v3, v3
	v_mul_f32_e32 v3, 0x5f7ffffc, v3
	v_mul_f32_e32 v4, 0x2f800000, v3
	v_trunc_f32_e32 v4, v4
	v_mac_f32_e32 v3, 0xcf800000, v4
	v_cvt_u32_f32_e32 v4, v4
	v_cvt_u32_f32_e32 v3, v3
	v_readfirstlane_b32 s45, v4
	v_readfirstlane_b32 s48, v3
	s_mul_i32 s49, s0, s45
	s_mul_hi_u32 s52, s0, s48
	s_mul_i32 s51, s1, s48
	s_add_i32 s49, s52, s49
	s_mul_i32 s53, s0, s48
	s_add_i32 s49, s49, s51
	s_mul_hi_u32 s51, s48, s49
	s_mul_i32 s52, s48, s49
	s_mul_hi_u32 s48, s48, s53
	s_add_u32 s48, s48, s52
	s_addc_u32 s51, 0, s51
	s_mul_hi_u32 s54, s45, s53
	s_mul_i32 s53, s45, s53
	s_add_u32 s48, s48, s53
	s_mul_hi_u32 s52, s45, s49
	s_addc_u32 s48, s51, s54
	s_addc_u32 s51, s52, 0
	s_mul_i32 s49, s45, s49
	s_add_u32 s48, s48, s49
	s_addc_u32 s49, 0, s51
	v_add_co_u32_e32 v3, vcc, s48, v3
	s_cmp_lg_u64 vcc, 0
	s_addc_u32 s45, s45, s49
	v_readfirstlane_b32 s49, v3
	s_mul_i32 s48, s0, s45
	s_mul_hi_u32 s51, s0, s49
	s_add_i32 s48, s51, s48
	s_mul_i32 s1, s1, s49
	s_add_i32 s48, s48, s1
	s_mul_i32 s0, s0, s49
	s_mul_hi_u32 s51, s45, s0
	s_mul_i32 s52, s45, s0
	s_mul_i32 s54, s49, s48
	s_mul_hi_u32 s0, s49, s0
	s_mul_hi_u32 s53, s49, s48
	s_add_u32 s0, s0, s54
	s_addc_u32 s49, 0, s53
	s_add_u32 s0, s0, s52
	s_mul_hi_u32 s1, s45, s48
	s_addc_u32 s0, s49, s51
	s_addc_u32 s1, s1, 0
	s_mul_i32 s48, s45, s48
	s_add_u32 s0, s0, s48
	s_addc_u32 s1, 0, s1
	v_add_co_u32_e32 v3, vcc, s0, v3
	s_cmp_lg_u64 vcc, 0
	s_addc_u32 s0, s45, s1
	v_readfirstlane_b32 s48, v3
	s_mul_i32 s45, s20, s0
	s_mul_hi_u32 s49, s20, s48
	s_mul_hi_u32 s1, s20, s0
	s_add_u32 s45, s49, s45
	s_addc_u32 s1, 0, s1
	s_mul_hi_u32 s51, s21, s48
	s_mul_i32 s48, s21, s48
	s_add_u32 s45, s45, s48
	s_mul_hi_u32 s49, s21, s0
	s_addc_u32 s1, s1, s51
	s_addc_u32 s45, s49, 0
	s_mul_i32 s0, s21, s0
	s_add_u32 s48, s1, s0
	s_addc_u32 s45, 0, s45
	s_mul_i32 s0, s46, s45
	s_mul_hi_u32 s1, s46, s48
	s_add_i32 s0, s1, s0
	s_mul_i32 s1, s47, s48
	s_add_i32 s49, s0, s1
	s_mul_i32 s1, s46, s48
	v_mov_b32_e32 v3, s1
	s_sub_i32 s0, s21, s49
	v_sub_co_u32_e32 v3, vcc, s20, v3
	s_cmp_lg_u64 vcc, 0
	s_subb_u32 s51, s0, s47
	v_subrev_co_u32_e64 v4, s[0:1], s46, v3
	s_cmp_lg_u64 s[0:1], 0
	s_subb_u32 s0, s51, 0
	s_cmp_ge_u32 s0, s47
	v_readfirstlane_b32 s51, v4
	s_cselect_b32 s1, -1, 0
	s_cmp_ge_u32 s51, s46
	s_cselect_b32 s51, -1, 0
	s_cmp_eq_u32 s0, s47
	s_cselect_b32 s0, s51, s1
	s_add_u32 s1, s48, 1
	s_addc_u32 s51, s45, 0
	s_add_u32 s52, s48, 2
	s_addc_u32 s53, s45, 0
	s_cmp_lg_u32 s0, 0
	s_cselect_b32 s0, s52, s1
	s_cselect_b32 s1, s53, s51
	s_cmp_lg_u64 vcc, 0
	s_subb_u32 s49, s21, s49
	s_cmp_ge_u32 s49, s47
	v_readfirstlane_b32 s52, v3
	s_cselect_b32 s51, -1, 0
	s_cmp_ge_u32 s52, s46
	s_cselect_b32 s52, -1, 0
	s_cmp_eq_u32 s49, s47
	s_cselect_b32 s49, s52, s51
	s_cmp_lg_u32 s49, 0
	s_cselect_b32 s1, s1, s45
	s_cselect_b32 s0, s0, s48
	s_cbranch_execnz .LBB0_7
.LBB0_6:                                ;   in Loop: Header=BB0_4 Depth=1
	v_cvt_f32_u32_e32 v3, s46
	s_sub_i32 s0, 0, s46
	v_rcp_iflag_f32_e32 v3, v3
	v_mul_f32_e32 v3, 0x4f7ffffe, v3
	v_cvt_u32_f32_e32 v3, v3
	v_readfirstlane_b32 s1, v3
	s_mul_i32 s0, s0, s1
	s_mul_hi_u32 s0, s1, s0
	s_add_i32 s1, s1, s0
	s_mul_hi_u32 s0, s20, s1
	s_mul_i32 s45, s0, s46
	s_sub_i32 s45, s20, s45
	s_add_i32 s1, s0, 1
	s_sub_i32 s48, s45, s46
	s_cmp_ge_u32 s45, s46
	s_cselect_b32 s0, s1, s0
	s_cselect_b32 s45, s48, s45
	s_add_i32 s1, s0, 1
	s_cmp_ge_u32 s45, s46
	s_cselect_b32 s0, s1, s0
	s_mov_b32 s1, s44
.LBB0_7:                                ;   in Loop: Header=BB0_4 Depth=1
	s_mul_i32 s31, s46, s31
	s_mul_hi_u32 s45, s46, s30
	s_add_i32 s31, s45, s31
	s_mul_i32 s45, s47, s30
	s_add_i32 s31, s31, s45
	s_mul_i32 s45, s0, s47
	s_mul_hi_u32 s47, s0, s46
	s_load_dwordx2 s[48:49], s[38:39], 0x0
	s_add_i32 s45, s47, s45
	s_mul_i32 s47, s1, s46
	s_mul_i32 s30, s46, s30
	s_add_i32 s45, s45, s47
	s_mul_i32 s46, s0, s46
	s_sub_u32 s46, s20, s46
	s_subb_u32 s45, s21, s45
	s_waitcnt lgkmcnt(0)
	s_mul_i32 s20, s48, s45
	s_mul_hi_u32 s21, s48, s46
	s_add_i32 s47, s21, s20
	s_load_dwordx2 s[20:21], s[36:37], 0x0
	s_mul_i32 s49, s49, s46
	s_add_i32 s47, s47, s49
	s_mul_i32 s48, s48, s46
	s_add_u32 s28, s48, s28
	s_addc_u32 s29, s47, s29
	s_waitcnt lgkmcnt(0)
	s_mul_i32 s45, s20, s45
	s_mul_hi_u32 s47, s20, s46
	s_add_i32 s45, s47, s45
	s_mul_i32 s21, s21, s46
	s_add_i32 s45, s45, s21
	s_mul_i32 s20, s20, s46
	s_add_u32 s4, s20, s4
	s_addc_u32 s5, s45, s5
	s_add_u32 s42, s42, 1
	s_addc_u32 s43, s43, 0
	;; [unrolled: 2-line block ×4, first 2 shown]
	v_cmp_ge_u64_e32 vcc, s[42:43], v[1:2]
	s_add_u32 s40, s40, 8
	s_addc_u32 s41, s41, 0
	s_cbranch_vccnz .LBB0_10
; %bb.8:                                ;   in Loop: Header=BB0_4 Depth=1
	s_mov_b64 s[20:21], s[0:1]
	s_branch .LBB0_4
.LBB0_9:                                ;   in Loop: Header=BB0_4 Depth=1
                                        ; implicit-def: $sgpr0_sgpr1
	s_branch .LBB0_6
.LBB0_10:
	v_mov_b32_e32 v1, s30
	v_mov_b32_e32 v2, s31
	v_cmp_lt_u64_e32 vcc, s[6:7], v[1:2]
	s_mov_b64 s[20:21], 0
	s_cbranch_vccnz .LBB0_12
; %bb.11:
	v_cvt_f32_u32_e32 v1, s30
	s_sub_i32 s0, 0, s30
	v_rcp_iflag_f32_e32 v1, v1
	v_mul_f32_e32 v1, 0x4f7ffffe, v1
	v_cvt_u32_f32_e32 v1, v1
	v_readfirstlane_b32 s1, v1
	s_mul_i32 s0, s0, s1
	s_mul_hi_u32 s0, s1, s0
	s_add_i32 s1, s1, s0
	s_mul_hi_u32 s0, s6, s1
	s_mul_i32 s7, s0, s30
	s_sub_i32 s6, s6, s7
	s_add_i32 s1, s0, 1
	s_sub_i32 s7, s6, s30
	s_cmp_ge_u32 s6, s30
	s_cselect_b32 s0, s1, s0
	s_cselect_b32 s6, s7, s6
	s_add_i32 s1, s0, 1
	s_cmp_ge_u32 s6, s30
	s_cselect_b32 s20, s1, s0
.LBB0_12:
	s_lshl_b64 s[30:31], s[34:35], 3
	s_add_u32 s6, s26, s30
	s_addc_u32 s7, s27, s31
	s_add_u32 s0, s50, 5
	v_mov_b32_e32 v1, s24
	s_addc_u32 s1, s33, 0
	v_mov_b32_e32 v2, s25
	v_cmp_le_u64_e32 vcc, s[0:1], v[1:2]
	v_mul_u32_u24_e32 v1, 0x3334, v0
	v_lshrrev_b32_e32 v1, 16, v1
	v_mul_lo_u16_e32 v2, 5, v1
	v_sub_u16_e32 v3, v0, v2
	v_mov_b32_e32 v2, s33
	v_add_co_u32_e64 v4, s[0:1], s50, v3
	v_addc_co_u32_e64 v5, s[0:1], 0, v2, s[0:1]
	v_cmp_gt_u64_e64 s[0:1], s[24:25], v[4:5]
	v_lshlrev_b32_e32 v4, 4, v1
	s_or_b64 s[0:1], vcc, s[0:1]
	v_add_u32_e32 v2, 49, v1
	s_and_saveexec_b64 s[24:25], s[0:1]
	s_cbranch_execz .LBB0_14
; %bb.13:
	s_add_u32 s2, s2, s30
	s_addc_u32 s3, s3, s31
	s_load_dwordx2 s[2:3], s[2:3], 0x0
	v_mad_u64_u32 v[5:6], s[26:27], s18, v3, 0
	v_mad_u64_u32 v[7:8], s[26:27], s16, v1, 0
	s_waitcnt lgkmcnt(0)
	s_mul_i32 s3, s3, s20
	s_mul_hi_u32 s21, s2, s20
	v_mad_u64_u32 v[9:10], s[18:19], s19, v3, v[6:7]
	s_add_i32 s3, s21, s3
	s_mul_i32 s2, s2, s20
	v_mov_b32_e32 v6, v8
	s_lshl_b64 s[2:3], s[2:3], 4
	v_mad_u64_u32 v[10:11], s[18:19], s17, v1, v[6:7]
	s_add_u32 s12, s12, s2
	v_mov_b32_e32 v6, v9
	s_addc_u32 s13, s13, s3
	s_lshl_b64 s[2:3], s[28:29], 4
	s_add_u32 s2, s12, s2
	v_lshlrev_b64 v[5:6], 4, v[5:6]
	s_addc_u32 s3, s13, s3
	v_mov_b32_e32 v8, v10
	v_mov_b32_e32 v9, s3
	v_add_co_u32_e32 v36, vcc, s2, v5
	v_addc_co_u32_e32 v37, vcc, v9, v6, vcc
	v_lshlrev_b64 v[5:6], 4, v[7:8]
	v_add_u32_e32 v11, 0x62, v1
	v_add_co_u32_e32 v13, vcc, v36, v5
	v_addc_co_u32_e32 v14, vcc, v37, v6, vcc
	v_mad_u64_u32 v[5:6], s[2:3], s16, v2, 0
	v_mad_u64_u32 v[7:8], s[2:3], s16, v11, 0
	v_add_u32_e32 v25, 0xc4, v1
	v_add_u32_e32 v27, 0xf5, v1
	v_mad_u64_u32 v[9:10], s[2:3], s17, v2, v[6:7]
	v_mov_b32_e32 v6, v8
	v_mad_u64_u32 v[10:11], s[2:3], s17, v11, v[6:7]
	v_add_u32_e32 v11, 0x93, v1
	v_mad_u64_u32 v[15:16], s[2:3], s16, v11, 0
	v_mov_b32_e32 v6, v9
	v_lshlrev_b64 v[5:6], 4, v[5:6]
	v_mov_b32_e32 v8, v10
	v_add_co_u32_e32 v17, vcc, v36, v5
	v_mov_b32_e32 v5, v16
	v_mad_u64_u32 v[19:20], s[2:3], s17, v11, v[5:6]
	v_lshlrev_b64 v[7:8], 4, v[7:8]
	v_addc_co_u32_e32 v18, vcc, v37, v6, vcc
	v_add_co_u32_e32 v21, vcc, v36, v7
	v_mov_b32_e32 v16, v19
	v_addc_co_u32_e32 v22, vcc, v37, v8, vcc
	global_load_dwordx4 v[5:8], v[13:14], off
	global_load_dwordx4 v[9:12], v[17:18], off
	v_lshlrev_b64 v[13:14], 4, v[15:16]
	v_add_co_u32_e32 v23, vcc, v36, v13
	v_addc_co_u32_e32 v24, vcc, v37, v14, vcc
	global_load_dwordx4 v[13:16], v[21:22], off
	global_load_dwordx4 v[17:20], v[23:24], off
	v_mad_u64_u32 v[21:22], s[2:3], s16, v25, 0
	v_mad_u64_u32 v[23:24], s[2:3], s16, v27, 0
	;; [unrolled: 1-line block ×3, first 2 shown]
	v_mov_b32_e32 v22, v24
	v_mad_u64_u32 v[26:27], s[2:3], s17, v27, v[22:23]
	v_add_u32_e32 v27, 0x126, v1
	v_mov_b32_e32 v22, v25
	v_mad_u64_u32 v[29:30], s[2:3], s16, v27, 0
	v_lshlrev_b64 v[21:22], 4, v[21:22]
	v_mov_b32_e32 v24, v26
	v_add_co_u32_e32 v31, vcc, v36, v21
	v_addc_co_u32_e32 v32, vcc, v37, v22, vcc
	v_lshlrev_b64 v[21:22], 4, v[23:24]
	v_mov_b32_e32 v23, v30
	v_mad_u64_u32 v[33:34], s[2:3], s17, v27, v[23:24]
	v_add_co_u32_e32 v34, vcc, v36, v21
	v_addc_co_u32_e32 v35, vcc, v37, v22, vcc
	global_load_dwordx4 v[21:24], v[31:32], off
	global_load_dwordx4 v[25:28], v[34:35], off
	v_mov_b32_e32 v30, v33
	v_lshlrev_b64 v[29:30], 4, v[29:30]
	v_mul_u32_u24_e32 v33, 0x1570, v3
	v_add_co_u32_e32 v29, vcc, v36, v29
	v_addc_co_u32_e32 v30, vcc, v37, v30, vcc
	global_load_dwordx4 v[29:32], v[29:30], off
	v_add3_u32 v33, 0, v33, v4
	s_waitcnt vmcnt(6)
	ds_write_b128 v33, v[5:8]
	s_waitcnt vmcnt(5)
	ds_write_b128 v33, v[9:12] offset:784
	s_waitcnt vmcnt(4)
	ds_write_b128 v33, v[13:16] offset:1568
	;; [unrolled: 2-line block ×6, first 2 shown]
.LBB0_14:
	s_or_b64 exec, exec, s[24:25]
	s_movk_i32 s2, 0x53a
	v_mul_u32_u24_sdwa v5, v0, s2 dst_sel:DWORD dst_unused:UNUSED_PAD src0_sel:WORD_0 src1_sel:DWORD
	s_add_u32 s2, 0, 0x3330c000
	s_addc_u32 s3, 0, 0xb3
	s_add_i32 s3, s3, 0x33333280
	s_mul_hi_u32 s17, s2, -5
	s_sub_i32 s17, s17, s2
	s_mul_i32 s18, s3, -5
	s_mul_i32 s12, s2, -5
	s_add_i32 s17, s17, s18
	s_mul_hi_u32 s13, s3, s12
	s_mul_i32 s16, s3, s12
	s_mul_i32 s19, s2, s17
	s_mul_hi_u32 s12, s2, s12
	s_mul_hi_u32 s18, s2, s17
	s_add_u32 s12, s12, s19
	s_addc_u32 s18, 0, s18
	s_add_u32 s12, s12, s16
	s_mul_hi_u32 s19, s3, s17
	s_addc_u32 s12, s18, s13
	v_lshrrev_b32_e32 v9, 16, v5
	s_addc_u32 s13, s19, 0
	s_mul_i32 s16, s3, s17
	v_mov_b32_e32 v5, s33
	v_add_co_u32_e32 v10, vcc, s50, v9
	s_add_u32 s12, s12, s16
	v_addc_co_u32_e32 v11, vcc, 0, v5, vcc
	v_mov_b32_e32 v5, s12
	s_addc_u32 s13, 0, s13
	v_add_co_u32_e32 v7, vcc, s2, v5
	s_cmp_lg_u64 vcc, 0
	s_addc_u32 s12, s3, s13
	v_mad_u64_u32 v[5:6], s[2:3], v10, s12, 0
	v_mul_hi_u32 v8, v10, v7
	s_mov_b32 s16, 0x37e14327
	s_mov_b32 s18, 0xe976ee23
	;; [unrolled: 1-line block ×3, first 2 shown]
	v_add_co_u32_e32 v12, vcc, v8, v5
	v_addc_co_u32_e32 v13, vcc, 0, v6, vcc
	v_mad_u64_u32 v[5:6], s[2:3], v11, v7, 0
	v_mad_u64_u32 v[7:8], s[2:3], v11, s12, 0
	v_add_co_u32_e32 v5, vcc, v12, v5
	v_addc_co_u32_e32 v5, vcc, v13, v6, vcc
	v_addc_co_u32_e32 v6, vcc, 0, v8, vcc
	v_add_co_u32_e32 v5, vcc, v5, v7
	v_addc_co_u32_e32 v7, vcc, 0, v6, vcc
	v_mad_u64_u32 v[5:6], s[2:3], v5, 5, 0
	s_load_dwordx2 s[2:3], s[6:7], 0x0
	s_waitcnt lgkmcnt(0)
	v_mad_u64_u32 v[6:7], s[6:7], v7, 5, v[6:7]
	v_sub_co_u32_e32 v5, vcc, v10, v5
	v_subb_co_u32_e32 v6, vcc, v11, v6, vcc
	v_subrev_co_u32_e32 v7, vcc, 5, v5
	v_subbrev_co_u32_e32 v8, vcc, 0, v6, vcc
	v_cmp_lt_u32_e32 vcc, 4, v7
	v_cndmask_b32_e64 v10, 0, -1, vcc
	v_cmp_eq_u32_e32 vcc, 0, v8
	v_cndmask_b32_e32 v8, -1, v10, vcc
	v_add_u32_e32 v10, -5, v7
	v_cmp_ne_u32_e32 vcc, 0, v8
	v_cndmask_b32_e32 v7, v7, v10, vcc
	v_cmp_lt_u32_e32 vcc, 4, v5
	v_cndmask_b32_e64 v8, 0, -1, vcc
	v_cmp_eq_u32_e32 vcc, 0, v6
	v_cndmask_b32_e32 v6, -1, v8, vcc
	v_cmp_ne_u32_e32 vcc, 0, v6
	v_cndmask_b32_e32 v5, v5, v7, vcc
	v_mul_lo_u16_e32 v6, 49, v9
	v_mul_u32_u24_e32 v5, 0x157, v5
	v_sub_u16_e32 v6, v0, v6
	v_lshlrev_b32_e32 v7, 4, v5
	v_lshlrev_b32_e32 v0, 4, v6
	v_add3_u32 v5, 0, v7, v0
	s_barrier
	v_add3_u32 v0, 0, v0, v7
	ds_read_b128 v[8:11], v5
	ds_read_b128 v[12:15], v0 offset:784
	ds_read_b128 v[16:19], v0 offset:4704
	;; [unrolled: 1-line block ×6, first 2 shown]
	s_waitcnt lgkmcnt(4)
	v_add_f64 v[36:37], v[12:13], v[16:17]
	v_add_f64 v[38:39], v[14:15], v[18:19]
	v_add_f64 v[12:13], v[12:13], -v[16:17]
	v_add_f64 v[14:15], v[14:15], -v[18:19]
	s_waitcnt lgkmcnt(0)
	v_add_f64 v[16:17], v[20:21], v[32:33]
	v_add_f64 v[18:19], v[22:23], v[34:35]
	v_add_f64 v[20:21], v[20:21], -v[32:33]
	v_add_f64 v[22:23], v[22:23], -v[34:35]
	v_add_f64 v[32:33], v[24:25], v[28:29]
	v_add_f64 v[34:35], v[26:27], v[30:31]
	v_add_f64 v[24:25], v[28:29], -v[24:25]
	v_add_f64 v[26:27], v[30:31], -v[26:27]
	;; [unrolled: 4-line block ×3, first 2 shown]
	v_add_f64 v[36:37], v[36:37], -v[32:33]
	v_add_f64 v[38:39], v[38:39], -v[34:35]
	;; [unrolled: 1-line block ×4, first 2 shown]
	v_add_f64 v[44:45], v[24:25], v[20:21]
	v_add_f64 v[46:47], v[26:27], v[22:23]
	v_add_f64 v[48:49], v[24:25], -v[20:21]
	v_add_f64 v[50:51], v[26:27], -v[22:23]
	v_add_f64 v[28:29], v[32:33], v[28:29]
	v_add_f64 v[30:31], v[34:35], v[30:31]
	v_add_f64 v[20:21], v[20:21], -v[12:13]
	v_add_f64 v[22:23], v[22:23], -v[14:15]
	s_mov_b32 s12, 0x36b3c0b5
	s_mov_b32 s13, 0x3fac98ee
	;; [unrolled: 1-line block ×4, first 2 shown]
	v_add_f64 v[24:25], v[12:13], -v[24:25]
	v_add_f64 v[26:27], v[14:15], -v[26:27]
	v_add_f64 v[12:13], v[44:45], v[12:13]
	v_add_f64 v[14:15], v[46:47], v[14:15]
	;; [unrolled: 1-line block ×4, first 2 shown]
	v_mul_f64 v[32:33], v[36:37], s[16:17]
	v_mul_f64 v[34:35], v[38:39], s[16:17]
	;; [unrolled: 1-line block ×6, first 2 shown]
	s_mov_b32 s7, 0x3febfeb5
	v_mul_f64 v[48:49], v[20:21], s[6:7]
	v_mul_f64 v[50:51], v[22:23], s[6:7]
	s_mov_b32 s24, 0xaaaaaaaa
	s_mov_b32 s26, 0x5476071b
	;; [unrolled: 1-line block ×8, first 2 shown]
	v_fma_f64 v[28:29], v[28:29], s[24:25], v[8:9]
	v_fma_f64 v[30:31], v[30:31], s[24:25], v[10:11]
	;; [unrolled: 1-line block ×4, first 2 shown]
	v_fma_f64 v[36:37], v[40:41], s[26:27], -v[36:37]
	v_fma_f64 v[38:39], v[42:43], s[26:27], -v[38:39]
	;; [unrolled: 1-line block ×4, first 2 shown]
	v_fma_f64 v[40:41], v[24:25], s[36:37], v[44:45]
	v_fma_f64 v[42:43], v[26:27], s[36:37], v[46:47]
	s_mov_b32 s35, 0xbfd5d0dc
	s_mov_b32 s34, s36
	v_fma_f64 v[24:25], v[24:25], s[34:35], -v[48:49]
	v_fma_f64 v[26:27], v[26:27], s[34:35], -v[50:51]
	;; [unrolled: 1-line block ×4, first 2 shown]
	s_mov_b32 s30, 0x37c3f68c
	s_mov_b32 s31, 0x3fdc38aa
	v_add_f64 v[44:45], v[16:17], v[28:29]
	v_add_f64 v[46:47], v[18:19], v[30:31]
	v_add_f64 v[36:37], v[36:37], v[28:29]
	v_add_f64 v[38:39], v[38:39], v[30:31]
	v_add_f64 v[28:29], v[32:33], v[28:29]
	v_add_f64 v[30:31], v[34:35], v[30:31]
	v_fma_f64 v[32:33], v[14:15], s[30:31], v[42:43]
	v_fma_f64 v[34:35], v[12:13], s[30:31], v[40:41]
	v_fma_f64 v[40:41], v[14:15], s[30:31], v[26:27]
	v_fma_f64 v[42:43], v[12:13], s[30:31], v[24:25]
	v_fma_f64 v[24:25], v[14:15], s[30:31], v[22:23]
	v_fma_f64 v[26:27], v[12:13], s[30:31], v[20:21]
	s_movk_i32 s21, 0x60
	v_add_f64 v[12:13], v[44:45], v[32:33]
	v_add_f64 v[14:15], v[46:47], -v[34:35]
	v_add_f64 v[16:17], v[28:29], v[40:41]
	v_add_f64 v[18:19], v[30:31], -v[42:43]
	v_add_f64 v[20:21], v[36:37], -v[24:25]
	v_add_f64 v[22:23], v[26:27], v[38:39]
	v_add_f64 v[24:25], v[36:37], v[24:25]
	v_add_f64 v[26:27], v[38:39], -v[26:27]
	v_add_f64 v[28:29], v[28:29], -v[40:41]
	v_add_f64 v[30:31], v[42:43], v[30:31]
	v_add_f64 v[32:33], v[44:45], -v[32:33]
	v_add_f64 v[34:35], v[34:35], v[46:47]
	v_mad_u32_u24 v36, v6, s21, v0
	s_barrier
	ds_write_b128 v36, v[8:11]
	ds_write_b128 v36, v[12:15] offset:16
	ds_write_b128 v36, v[16:19] offset:32
	;; [unrolled: 1-line block ×6, first 2 shown]
	v_mov_b32_e32 v8, 37
	v_mul_lo_u16_sdwa v8, v6, v8 dst_sel:DWORD dst_unused:UNUSED_PAD src0_sel:BYTE_0 src1_sel:DWORD
	v_sub_u16_sdwa v9, v6, v8 dst_sel:DWORD dst_unused:UNUSED_PAD src0_sel:DWORD src1_sel:BYTE_1
	v_lshrrev_b16_e32 v9, 1, v9
	v_and_b32_e32 v9, 0x7f, v9
	v_add_u16_sdwa v8, v9, v8 dst_sel:DWORD dst_unused:UNUSED_PAD src0_sel:DWORD src1_sel:BYTE_1
	v_lshrrev_b16_e32 v9, 2, v8
	v_mul_lo_u16_e32 v8, 7, v9
	v_sub_u16_e32 v8, v6, v8
	v_mov_b32_e32 v10, 6
	v_mul_u32_u24_sdwa v10, v8, v10 dst_sel:DWORD dst_unused:UNUSED_PAD src0_sel:BYTE_0 src1_sel:DWORD
	v_lshlrev_b32_e32 v34, 4, v10
	s_waitcnt lgkmcnt(0)
	s_barrier
	global_load_dwordx4 v[10:13], v34, s[22:23]
	global_load_dwordx4 v[14:17], v34, s[22:23] offset:16
	global_load_dwordx4 v[18:21], v34, s[22:23] offset:80
	;; [unrolled: 1-line block ×5, first 2 shown]
	ds_read_b128 v[34:37], v0 offset:784
	ds_read_b128 v[38:41], v0 offset:1568
	;; [unrolled: 1-line block ×4, first 2 shown]
	s_movk_i32 s21, 0x310
	v_mad_u32_u24 v9, v9, s21, 0
	v_mul_u32_u24_e32 v6, 6, v6
	s_waitcnt vmcnt(5) lgkmcnt(3)
	v_mul_f64 v[50:51], v[36:37], v[12:13]
	v_mul_f64 v[12:13], v[34:35], v[12:13]
	s_waitcnt vmcnt(4) lgkmcnt(2)
	v_mul_f64 v[52:53], v[40:41], v[16:17]
	v_mul_f64 v[16:17], v[38:39], v[16:17]
	s_waitcnt vmcnt(2) lgkmcnt(1)
	v_mul_f64 v[56:57], v[44:45], v[24:25]
	v_mul_f64 v[24:25], v[42:43], v[24:25]
	v_fma_f64 v[50:51], v[34:35], v[10:11], -v[50:51]
	v_fma_f64 v[54:55], v[36:37], v[10:11], v[12:13]
	ds_read_b128 v[10:13], v0 offset:3136
	ds_read_b128 v[34:37], v0 offset:3920
	v_fma_f64 v[38:39], v[38:39], v[14:15], -v[52:53]
	s_waitcnt lgkmcnt(2)
	v_mul_f64 v[52:53], v[48:49], v[20:21]
	v_mul_f64 v[20:21], v[46:47], v[20:21]
	v_fma_f64 v[40:41], v[40:41], v[14:15], v[16:17]
	s_waitcnt vmcnt(0) lgkmcnt(0)
	v_mul_f64 v[60:61], v[36:37], v[32:33]
	v_mul_f64 v[32:33], v[34:35], v[32:33]
	;; [unrolled: 1-line block ×3, first 2 shown]
	ds_read_b128 v[14:17], v5
	s_waitcnt lgkmcnt(0)
	v_fma_f64 v[46:47], v[46:47], v[18:19], -v[52:53]
	v_fma_f64 v[18:19], v[48:49], v[18:19], v[20:21]
	v_mul_f64 v[20:21], v[10:11], v[28:29]
	v_fma_f64 v[28:29], v[42:43], v[22:23], -v[56:57]
	v_fma_f64 v[22:23], v[44:45], v[22:23], v[24:25]
	v_fma_f64 v[24:25], v[34:35], v[30:31], -v[60:61]
	v_fma_f64 v[30:31], v[36:37], v[30:31], v[32:33]
	v_fma_f64 v[10:11], v[10:11], v[26:27], -v[58:59]
	v_add_f64 v[32:33], v[50:51], -v[46:47]
	s_barrier
	v_fma_f64 v[12:13], v[12:13], v[26:27], v[20:21]
	v_add_f64 v[20:21], v[50:51], v[46:47]
	v_add_f64 v[26:27], v[54:55], v[18:19]
	;; [unrolled: 1-line block ×4, first 2 shown]
	v_add_f64 v[24:25], v[38:39], -v[24:25]
	v_add_f64 v[30:31], v[40:41], -v[30:31]
	v_add_f64 v[38:39], v[28:29], v[10:11]
	v_add_f64 v[40:41], v[22:23], v[12:13]
	v_add_f64 v[10:11], v[10:11], -v[28:29]
	v_add_f64 v[12:13], v[12:13], -v[22:23]
	v_add_f64 v[22:23], v[34:35], v[20:21]
	v_add_f64 v[28:29], v[36:37], v[26:27]
	v_add_f64 v[18:19], v[54:55], -v[18:19]
	v_add_f64 v[42:43], v[34:35], -v[20:21]
	;; [unrolled: 1-line block ×7, first 2 shown]
	v_add_f64 v[46:47], v[10:11], v[24:25]
	v_add_f64 v[48:49], v[12:13], v[30:31]
	v_add_f64 v[50:51], v[10:11], -v[24:25]
	v_add_f64 v[52:53], v[12:13], -v[30:31]
	v_add_f64 v[22:23], v[38:39], v[22:23]
	v_add_f64 v[28:29], v[40:41], v[28:29]
	v_add_f64 v[24:25], v[24:25], -v[32:33]
	v_add_f64 v[30:31], v[30:31], -v[18:19]
	;; [unrolled: 1-line block ×4, first 2 shown]
	v_add_f64 v[32:33], v[46:47], v[32:33]
	v_add_f64 v[18:19], v[48:49], v[18:19]
	;; [unrolled: 1-line block ×4, first 2 shown]
	v_mul_f64 v[14:15], v[20:21], s[16:17]
	v_mul_f64 v[16:17], v[26:27], s[16:17]
	;; [unrolled: 1-line block ×8, first 2 shown]
	v_fma_f64 v[22:23], v[22:23], s[24:25], v[10:11]
	v_fma_f64 v[28:29], v[28:29], s[24:25], v[12:13]
	;; [unrolled: 1-line block ×4, first 2 shown]
	v_fma_f64 v[20:21], v[42:43], s[26:27], -v[20:21]
	v_fma_f64 v[26:27], v[44:45], s[26:27], -v[26:27]
	;; [unrolled: 1-line block ×4, first 2 shown]
	v_fma_f64 v[42:43], v[38:39], s[36:37], v[46:47]
	v_fma_f64 v[44:45], v[40:41], s[36:37], v[48:49]
	v_fma_f64 v[38:39], v[38:39], s[34:35], -v[50:51]
	v_fma_f64 v[40:41], v[40:41], s[34:35], -v[52:53]
	;; [unrolled: 1-line block ×4, first 2 shown]
	v_add_f64 v[34:35], v[34:35], v[22:23]
	v_add_f64 v[36:37], v[36:37], v[28:29]
	v_fma_f64 v[42:43], v[32:33], s[30:31], v[42:43]
	v_fma_f64 v[44:45], v[18:19], s[30:31], v[44:45]
	v_add_f64 v[50:51], v[14:15], v[22:23]
	v_add_f64 v[52:53], v[16:17], v[28:29]
	v_fma_f64 v[40:41], v[18:19], s[30:31], v[40:41]
	v_fma_f64 v[38:39], v[32:33], s[30:31], v[38:39]
	;; [unrolled: 4-line block ×3, first 2 shown]
	v_add_f64 v[14:15], v[44:45], v[34:35]
	v_add_f64 v[16:17], v[36:37], -v[42:43]
	v_add_f64 v[18:19], v[40:41], v[50:51]
	v_add_f64 v[20:21], v[52:53], -v[38:39]
	v_add_f64 v[30:31], v[50:51], -v[40:41]
	v_add_f64 v[32:33], v[38:39], v[52:53]
	v_add_f64 v[22:23], v[46:47], -v[26:27]
	v_add_f64 v[24:25], v[28:29], v[48:49]
	v_add_f64 v[26:27], v[26:27], v[46:47]
	v_add_f64 v[28:29], v[48:49], -v[28:29]
	v_mov_b32_e32 v38, 4
	v_add_f64 v[34:35], v[34:35], -v[44:45]
	v_add_f64 v[36:37], v[42:43], v[36:37]
	v_lshlrev_b32_sdwa v8, v38, v8 dst_sel:DWORD dst_unused:UNUSED_PAD src0_sel:DWORD src1_sel:BYTE_0
	v_add3_u32 v7, v9, v8, v7
	ds_write_b128 v7, v[10:13]
	ds_write_b128 v7, v[14:17] offset:112
	ds_write_b128 v7, v[18:21] offset:224
	;; [unrolled: 1-line block ×6, first 2 shown]
	v_lshlrev_b32_e32 v30, 4, v6
	s_waitcnt lgkmcnt(0)
	s_barrier
	global_load_dwordx4 v[6:9], v30, s[22:23] offset:672
	global_load_dwordx4 v[10:13], v30, s[22:23] offset:688
	;; [unrolled: 1-line block ×6, first 2 shown]
	ds_read_b128 v[30:33], v0 offset:784
	ds_read_b128 v[34:37], v0 offset:1568
	;; [unrolled: 1-line block ×6, first 2 shown]
	s_waitcnt vmcnt(5) lgkmcnt(5)
	v_mul_f64 v[54:55], v[32:33], v[8:9]
	v_mul_f64 v[8:9], v[30:31], v[8:9]
	s_waitcnt vmcnt(4) lgkmcnt(4)
	v_mul_f64 v[56:57], v[36:37], v[12:13]
	v_mul_f64 v[12:13], v[34:35], v[12:13]
	v_fma_f64 v[30:31], v[30:31], v[6:7], -v[54:55]
	v_fma_f64 v[32:33], v[32:33], v[6:7], v[8:9]
	v_fma_f64 v[34:35], v[34:35], v[10:11], -v[56:57]
	v_fma_f64 v[9:10], v[36:37], v[10:11], v[12:13]
	s_waitcnt vmcnt(3) lgkmcnt(0)
	v_mul_f64 v[6:7], v[52:53], v[16:17]
	v_mul_f64 v[11:12], v[50:51], v[16:17]
	s_waitcnt vmcnt(2)
	v_mul_f64 v[16:17], v[40:41], v[20:21]
	v_mul_f64 v[20:21], v[38:39], v[20:21]
	s_waitcnt vmcnt(0)
	v_mul_f64 v[54:55], v[48:49], v[28:29]
	v_mul_f64 v[28:29], v[46:47], v[28:29]
	;; [unrolled: 1-line block ×4, first 2 shown]
	v_fma_f64 v[50:51], v[50:51], v[14:15], -v[6:7]
	v_fma_f64 v[11:12], v[52:53], v[14:15], v[11:12]
	v_fma_f64 v[13:14], v[38:39], v[18:19], -v[16:17]
	v_fma_f64 v[15:16], v[40:41], v[18:19], v[20:21]
	;; [unrolled: 2-line block ×4, first 2 shown]
	v_add_f64 v[23:24], v[30:31], v[50:51]
	v_add_f64 v[28:29], v[32:33], v[11:12]
	v_add_f64 v[11:12], v[32:33], -v[11:12]
	v_add_f64 v[30:31], v[30:31], -v[50:51]
	v_add_f64 v[32:33], v[34:35], v[17:18]
	v_add_f64 v[36:37], v[9:10], v[19:20]
	v_add_f64 v[17:18], v[34:35], -v[17:18]
	v_add_f64 v[9:10], v[9:10], -v[19:20]
	;; [unrolled: 4-line block ×4, first 2 shown]
	v_add_f64 v[23:24], v[23:24], -v[19:20]
	v_add_f64 v[27:28], v[28:29], -v[34:35]
	;; [unrolled: 1-line block ×4, first 2 shown]
	v_add_f64 v[42:43], v[13:14], v[17:18]
	v_add_f64 v[44:45], v[15:16], v[9:10]
	v_add_f64 v[46:47], v[13:14], -v[17:18]
	v_add_f64 v[48:49], v[15:16], -v[9:10]
	v_add_f64 v[19:20], v[19:20], v[21:22]
	v_add_f64 v[21:22], v[34:35], v[25:26]
	v_add_f64 v[17:18], v[17:18], -v[30:31]
	v_add_f64 v[9:10], v[9:10], -v[11:12]
	ds_read_b128 v[5:8], v5
	v_add_f64 v[13:14], v[30:31], -v[13:14]
	v_add_f64 v[15:16], v[11:12], -v[15:16]
	v_add_f64 v[25:26], v[42:43], v[30:31]
	v_add_f64 v[11:12], v[44:45], v[11:12]
	s_waitcnt lgkmcnt(0)
	v_add_f64 v[5:6], v[5:6], v[19:20]
	v_add_f64 v[7:8], v[7:8], v[21:22]
	v_mul_f64 v[23:24], v[23:24], s[16:17]
	v_mul_f64 v[27:28], v[27:28], s[16:17]
	;; [unrolled: 1-line block ×8, first 2 shown]
	v_fma_f64 v[19:20], v[19:20], s[24:25], v[5:6]
	v_fma_f64 v[21:22], v[21:22], s[24:25], v[7:8]
	;; [unrolled: 1-line block ×4, first 2 shown]
	v_fma_f64 v[29:30], v[38:39], s[26:27], -v[29:30]
	v_fma_f64 v[33:34], v[40:41], s[26:27], -v[34:35]
	v_fma_f64 v[23:24], v[38:39], s[28:29], -v[23:24]
	v_fma_f64 v[27:28], v[40:41], s[28:29], -v[27:28]
	v_fma_f64 v[38:39], v[13:14], s[36:37], v[42:43]
	v_fma_f64 v[40:41], v[15:16], s[36:37], v[44:45]
	v_fma_f64 v[13:14], v[13:14], s[34:35], -v[46:47]
	v_fma_f64 v[15:16], v[15:16], s[34:35], -v[48:49]
	;; [unrolled: 1-line block ×4, first 2 shown]
	v_add_f64 v[31:32], v[31:32], v[19:20]
	v_add_f64 v[35:36], v[36:37], v[21:22]
	v_fma_f64 v[37:38], v[25:26], s[30:31], v[38:39]
	v_fma_f64 v[40:41], v[11:12], s[30:31], v[40:41]
	v_add_f64 v[42:43], v[23:24], v[19:20]
	v_add_f64 v[27:28], v[27:28], v[21:22]
	v_fma_f64 v[44:45], v[11:12], s[30:31], v[15:16]
	v_fma_f64 v[46:47], v[25:26], s[30:31], v[13:14]
	;; [unrolled: 4-line block ×3, first 2 shown]
	v_add_f64 v[9:10], v[40:41], v[31:32]
	v_add_f64 v[11:12], v[35:36], -v[37:38]
	v_add_f64 v[13:14], v[44:45], v[42:43]
	v_add_f64 v[15:16], v[27:28], -v[46:47]
	v_add_f64 v[25:26], v[42:43], -v[44:45]
	v_add_f64 v[27:28], v[46:47], v[27:28]
	v_add_f64 v[17:18], v[29:30], -v[21:22]
	v_add_f64 v[19:20], v[23:24], v[33:34]
	v_add_f64 v[21:22], v[21:22], v[29:30]
	v_add_f64 v[23:24], v[33:34], -v[23:24]
	v_add_f64 v[29:30], v[31:32], -v[40:41]
	v_add_f64 v[31:32], v[37:38], v[35:36]
	s_barrier
	ds_write_b128 v0, v[5:8]
	ds_write_b128 v0, v[9:12] offset:784
	ds_write_b128 v0, v[13:16] offset:1568
	;; [unrolled: 1-line block ×6, first 2 shown]
	s_waitcnt lgkmcnt(0)
	s_barrier
	s_and_saveexec_b64 s[6:7], s[0:1]
	s_cbranch_execz .LBB0_16
; %bb.15:
	v_mad_u64_u32 v[7:8], s[6:7], s10, v3, 0
	s_mul_i32 s0, s3, s20
	s_mul_hi_u32 s1, s2, s20
	s_add_i32 s1, s1, s0
	s_mul_i32 s0, s2, s20
	v_mad_u64_u32 v[9:10], s[2:3], s8, v1, 0
	v_mov_b32_e32 v0, v8
	v_mad_u64_u32 v[5:6], s[2:3], s11, v3, v[0:1]
	v_mov_b32_e32 v0, v10
	v_mad_u64_u32 v[10:11], s[2:3], s9, v1, v[0:1]
	s_lshl_b64 s[0:1], s[0:1], 4
	s_add_u32 s2, s14, s0
	v_mov_b32_e32 v8, v5
	s_addc_u32 s3, s15, s1
	s_lshl_b64 s[0:1], s[4:5], 4
	v_mul_u32_u24_e32 v0, 0x1570, v3
	s_add_u32 s0, s2, s0
	v_lshlrev_b64 v[7:8], 4, v[7:8]
	v_add3_u32 v15, 0, v0, v4
	s_addc_u32 s1, s3, s1
	ds_read_b128 v[3:6], v15
	v_mov_b32_e32 v0, s1
	v_add_co_u32_e32 v16, vcc, s0, v7
	v_addc_co_u32_e32 v17, vcc, v0, v8, vcc
	v_lshlrev_b64 v[7:8], 4, v[9:10]
	v_mad_u64_u32 v[11:12], s[0:1], s8, v2, 0
	v_add_co_u32_e32 v13, vcc, v16, v7
	v_addc_co_u32_e32 v14, vcc, v17, v8, vcc
	ds_read_b128 v[7:10], v15 offset:784
	s_waitcnt lgkmcnt(1)
	global_store_dwordx4 v[13:14], v[3:6], off
	v_mov_b32_e32 v0, v12
	v_add_u32_e32 v4, 0x62, v1
	v_mad_u64_u32 v[13:14], s[0:1], s8, v4, 0
	v_mad_u64_u32 v[2:3], s[0:1], s9, v2, v[0:1]
	v_mov_b32_e32 v0, v14
	v_mad_u64_u32 v[4:5], s[0:1], s9, v4, v[0:1]
	v_mov_b32_e32 v12, v2
	v_lshlrev_b64 v[2:3], 4, v[11:12]
	v_mov_b32_e32 v14, v4
	v_add_co_u32_e32 v2, vcc, v16, v2
	v_addc_co_u32_e32 v3, vcc, v17, v3, vcc
	s_waitcnt lgkmcnt(0)
	global_store_dwordx4 v[2:3], v[7:10], off
	ds_read_b128 v[2:5], v15 offset:1568
	v_lshlrev_b64 v[6:7], 4, v[13:14]
	v_add_u32_e32 v14, 0x93, v1
	v_mad_u64_u32 v[10:11], s[0:1], s8, v14, 0
	v_add_co_u32_e32 v12, vcc, v16, v6
	v_addc_co_u32_e32 v13, vcc, v17, v7, vcc
	ds_read_b128 v[6:9], v15 offset:2352
	s_waitcnt lgkmcnt(1)
	global_store_dwordx4 v[12:13], v[2:5], off
	v_mov_b32_e32 v0, v11
	v_add_u32_e32 v4, 0xc4, v1
	v_mad_u64_u32 v[2:3], s[0:1], s9, v14, v[0:1]
	v_mad_u64_u32 v[12:13], s[0:1], s8, v4, 0
	v_mov_b32_e32 v11, v2
	v_lshlrev_b64 v[2:3], 4, v[10:11]
	v_mov_b32_e32 v0, v13
	v_mad_u64_u32 v[4:5], s[0:1], s9, v4, v[0:1]
	v_add_co_u32_e32 v2, vcc, v16, v2
	v_addc_co_u32_e32 v3, vcc, v17, v3, vcc
	v_add_u32_e32 v14, 0xf5, v1
	s_waitcnt lgkmcnt(0)
	global_store_dwordx4 v[2:3], v[6:9], off
	v_mov_b32_e32 v13, v4
	ds_read_b128 v[2:5], v15 offset:3136
	v_mad_u64_u32 v[10:11], s[0:1], s8, v14, 0
	v_lshlrev_b64 v[6:7], 4, v[12:13]
	v_add_co_u32_e32 v12, vcc, v16, v6
	v_addc_co_u32_e32 v13, vcc, v17, v7, vcc
	ds_read_b128 v[6:9], v15 offset:3920
	v_mov_b32_e32 v0, v11
	s_waitcnt lgkmcnt(1)
	global_store_dwordx4 v[12:13], v[2:5], off
	s_nop 0
	v_mad_u64_u32 v[2:3], s[0:1], s9, v14, v[0:1]
	v_add_u32_e32 v3, 0x126, v1
	v_mad_u64_u32 v[4:5], s[0:1], s8, v3, 0
	v_mov_b32_e32 v11, v2
	v_lshlrev_b64 v[0:1], 4, v[10:11]
	v_mov_b32_e32 v2, v5
	v_mad_u64_u32 v[2:3], s[0:1], s9, v3, v[2:3]
	v_add_co_u32_e32 v0, vcc, v16, v0
	v_addc_co_u32_e32 v1, vcc, v17, v1, vcc
	s_waitcnt lgkmcnt(0)
	global_store_dwordx4 v[0:1], v[6:9], off
	v_mov_b32_e32 v5, v2
	ds_read_b128 v[0:3], v15 offset:4704
	v_lshlrev_b64 v[4:5], 4, v[4:5]
	v_add_co_u32_e32 v4, vcc, v16, v4
	v_addc_co_u32_e32 v5, vcc, v17, v5, vcc
	s_waitcnt lgkmcnt(0)
	global_store_dwordx4 v[4:5], v[0:3], off
.LBB0_16:
	s_endpgm
	.section	.rodata,"a",@progbits
	.p2align	6, 0x0
	.amdhsa_kernel fft_rtc_fwd_len343_factors_7_7_7_wgs_245_tpt_49_dp_op_CI_CI_sbcc
		.amdhsa_group_segment_fixed_size 0
		.amdhsa_private_segment_fixed_size 0
		.amdhsa_kernarg_size 112
		.amdhsa_user_sgpr_count 6
		.amdhsa_user_sgpr_private_segment_buffer 1
		.amdhsa_user_sgpr_dispatch_ptr 0
		.amdhsa_user_sgpr_queue_ptr 0
		.amdhsa_user_sgpr_kernarg_segment_ptr 1
		.amdhsa_user_sgpr_dispatch_id 0
		.amdhsa_user_sgpr_flat_scratch_init 0
		.amdhsa_user_sgpr_private_segment_size 0
		.amdhsa_uses_dynamic_stack 0
		.amdhsa_system_sgpr_private_segment_wavefront_offset 0
		.amdhsa_system_sgpr_workgroup_id_x 1
		.amdhsa_system_sgpr_workgroup_id_y 0
		.amdhsa_system_sgpr_workgroup_id_z 0
		.amdhsa_system_sgpr_workgroup_info 0
		.amdhsa_system_vgpr_workitem_id 0
		.amdhsa_next_free_vgpr 62
		.amdhsa_next_free_sgpr 55
		.amdhsa_reserve_vcc 1
		.amdhsa_reserve_flat_scratch 0
		.amdhsa_float_round_mode_32 0
		.amdhsa_float_round_mode_16_64 0
		.amdhsa_float_denorm_mode_32 3
		.amdhsa_float_denorm_mode_16_64 3
		.amdhsa_dx10_clamp 1
		.amdhsa_ieee_mode 1
		.amdhsa_fp16_overflow 0
		.amdhsa_exception_fp_ieee_invalid_op 0
		.amdhsa_exception_fp_denorm_src 0
		.amdhsa_exception_fp_ieee_div_zero 0
		.amdhsa_exception_fp_ieee_overflow 0
		.amdhsa_exception_fp_ieee_underflow 0
		.amdhsa_exception_fp_ieee_inexact 0
		.amdhsa_exception_int_div_zero 0
	.end_amdhsa_kernel
	.text
.Lfunc_end0:
	.size	fft_rtc_fwd_len343_factors_7_7_7_wgs_245_tpt_49_dp_op_CI_CI_sbcc, .Lfunc_end0-fft_rtc_fwd_len343_factors_7_7_7_wgs_245_tpt_49_dp_op_CI_CI_sbcc
                                        ; -- End function
	.section	.AMDGPU.csdata,"",@progbits
; Kernel info:
; codeLenInByte = 6248
; NumSgprs: 59
; NumVgprs: 62
; ScratchSize: 0
; MemoryBound: 0
; FloatMode: 240
; IeeeMode: 1
; LDSByteSize: 0 bytes/workgroup (compile time only)
; SGPRBlocks: 7
; VGPRBlocks: 15
; NumSGPRsForWavesPerEU: 59
; NumVGPRsForWavesPerEU: 62
; Occupancy: 4
; WaveLimiterHint : 1
; COMPUTE_PGM_RSRC2:SCRATCH_EN: 0
; COMPUTE_PGM_RSRC2:USER_SGPR: 6
; COMPUTE_PGM_RSRC2:TRAP_HANDLER: 0
; COMPUTE_PGM_RSRC2:TGID_X_EN: 1
; COMPUTE_PGM_RSRC2:TGID_Y_EN: 0
; COMPUTE_PGM_RSRC2:TGID_Z_EN: 0
; COMPUTE_PGM_RSRC2:TIDIG_COMP_CNT: 0
	.type	__hip_cuid_664b4bbb834331dc,@object ; @__hip_cuid_664b4bbb834331dc
	.section	.bss,"aw",@nobits
	.globl	__hip_cuid_664b4bbb834331dc
__hip_cuid_664b4bbb834331dc:
	.byte	0                               ; 0x0
	.size	__hip_cuid_664b4bbb834331dc, 1

	.ident	"AMD clang version 19.0.0git (https://github.com/RadeonOpenCompute/llvm-project roc-6.4.0 25133 c7fe45cf4b819c5991fe208aaa96edf142730f1d)"
	.section	".note.GNU-stack","",@progbits
	.addrsig
	.addrsig_sym __hip_cuid_664b4bbb834331dc
	.amdgpu_metadata
---
amdhsa.kernels:
  - .args:
      - .actual_access:  read_only
        .address_space:  global
        .offset:         0
        .size:           8
        .value_kind:     global_buffer
      - .address_space:  global
        .offset:         8
        .size:           8
        .value_kind:     global_buffer
      - .offset:         16
        .size:           8
        .value_kind:     by_value
      - .actual_access:  read_only
        .address_space:  global
        .offset:         24
        .size:           8
        .value_kind:     global_buffer
      - .actual_access:  read_only
        .address_space:  global
        .offset:         32
        .size:           8
        .value_kind:     global_buffer
      - .actual_access:  read_only
        .address_space:  global
        .offset:         40
        .size:           8
        .value_kind:     global_buffer
      - .offset:         48
        .size:           8
        .value_kind:     by_value
      - .actual_access:  read_only
        .address_space:  global
        .offset:         56
        .size:           8
        .value_kind:     global_buffer
      - .actual_access:  read_only
        .address_space:  global
        .offset:         64
        .size:           8
        .value_kind:     global_buffer
      - .offset:         72
        .size:           4
        .value_kind:     by_value
      - .actual_access:  read_only
        .address_space:  global
        .offset:         80
        .size:           8
        .value_kind:     global_buffer
      - .actual_access:  read_only
        .address_space:  global
        .offset:         88
        .size:           8
        .value_kind:     global_buffer
      - .actual_access:  read_only
        .address_space:  global
        .offset:         96
        .size:           8
        .value_kind:     global_buffer
      - .actual_access:  write_only
        .address_space:  global
        .offset:         104
        .size:           8
        .value_kind:     global_buffer
    .group_segment_fixed_size: 0
    .kernarg_segment_align: 8
    .kernarg_segment_size: 112
    .language:       OpenCL C
    .language_version:
      - 2
      - 0
    .max_flat_workgroup_size: 245
    .name:           fft_rtc_fwd_len343_factors_7_7_7_wgs_245_tpt_49_dp_op_CI_CI_sbcc
    .private_segment_fixed_size: 0
    .sgpr_count:     59
    .sgpr_spill_count: 0
    .symbol:         fft_rtc_fwd_len343_factors_7_7_7_wgs_245_tpt_49_dp_op_CI_CI_sbcc.kd
    .uniform_work_group_size: 1
    .uses_dynamic_stack: false
    .vgpr_count:     62
    .vgpr_spill_count: 0
    .wavefront_size: 64
amdhsa.target:   amdgcn-amd-amdhsa--gfx906
amdhsa.version:
  - 1
  - 2
...

	.end_amdgpu_metadata
